;; amdgpu-corpus repo=ROCm/rocFFT kind=compiled arch=gfx1030 opt=O3
	.text
	.amdgcn_target "amdgcn-amd-amdhsa--gfx1030"
	.amdhsa_code_object_version 6
	.protected	fft_rtc_fwd_len200_factors_10_10_2_wgs_60_tpt_20_halfLds_sp_op_CI_CI_unitstride_sbrr_C2R_dirReg ; -- Begin function fft_rtc_fwd_len200_factors_10_10_2_wgs_60_tpt_20_halfLds_sp_op_CI_CI_unitstride_sbrr_C2R_dirReg
	.globl	fft_rtc_fwd_len200_factors_10_10_2_wgs_60_tpt_20_halfLds_sp_op_CI_CI_unitstride_sbrr_C2R_dirReg
	.p2align	8
	.type	fft_rtc_fwd_len200_factors_10_10_2_wgs_60_tpt_20_halfLds_sp_op_CI_CI_unitstride_sbrr_C2R_dirReg,@function
fft_rtc_fwd_len200_factors_10_10_2_wgs_60_tpt_20_halfLds_sp_op_CI_CI_unitstride_sbrr_C2R_dirReg: ; @fft_rtc_fwd_len200_factors_10_10_2_wgs_60_tpt_20_halfLds_sp_op_CI_CI_unitstride_sbrr_C2R_dirReg
; %bb.0:
	s_load_dwordx4 s[12:15], s[4:5], 0x0
	v_mul_u32_u24_e32 v1, 0xccd, v0
	s_clause 0x1
	s_load_dwordx4 s[8:11], s[4:5], 0x58
	s_load_dwordx4 s[16:19], s[4:5], 0x18
	v_mov_b32_e32 v10, 0
	v_mov_b32_e32 v6, 0
	;; [unrolled: 1-line block ×3, first 2 shown]
	v_lshrrev_b32_e32 v1, 16, v1
	v_mad_u64_u32 v[8:9], null, s6, 3, v[1:2]
	v_mov_b32_e32 v9, v10
	v_mov_b32_e32 v1, v6
	;; [unrolled: 1-line block ×4, first 2 shown]
	s_waitcnt lgkmcnt(0)
	v_cmp_lt_u64_e64 s0, s[14:15], 2
	v_mov_b32_e32 v4, v9
	s_and_b32 vcc_lo, exec_lo, s0
	s_cbranch_vccnz .LBB0_8
; %bb.1:
	s_load_dwordx2 s[0:1], s[4:5], 0x10
	v_mov_b32_e32 v6, 0
	v_mov_b32_e32 v7, 0
	s_add_u32 s2, s18, 8
	v_mov_b32_e32 v13, v9
	s_addc_u32 s3, s19, 0
	v_mov_b32_e32 v1, v6
	v_mov_b32_e32 v12, v8
	s_add_u32 s6, s16, 8
	v_mov_b32_e32 v2, v7
	s_addc_u32 s7, s17, 0
	s_mov_b64 s[22:23], 1
	s_waitcnt lgkmcnt(0)
	s_add_u32 s20, s0, 8
	s_addc_u32 s21, s1, 0
.LBB0_2:                                ; =>This Inner Loop Header: Depth=1
	s_load_dwordx2 s[24:25], s[20:21], 0x0
                                        ; implicit-def: $vgpr3_vgpr4
	s_mov_b32 s0, exec_lo
	s_waitcnt lgkmcnt(0)
	v_or_b32_e32 v11, s25, v13
	v_cmpx_ne_u64_e32 0, v[10:11]
	s_xor_b32 s1, exec_lo, s0
	s_cbranch_execz .LBB0_4
; %bb.3:                                ;   in Loop: Header=BB0_2 Depth=1
	v_cvt_f32_u32_e32 v3, s24
	v_cvt_f32_u32_e32 v4, s25
	s_sub_u32 s0, 0, s24
	s_subb_u32 s26, 0, s25
	v_fmac_f32_e32 v3, 0x4f800000, v4
	v_rcp_f32_e32 v3, v3
	v_mul_f32_e32 v3, 0x5f7ffffc, v3
	v_mul_f32_e32 v4, 0x2f800000, v3
	v_trunc_f32_e32 v4, v4
	v_fmac_f32_e32 v3, 0xcf800000, v4
	v_cvt_u32_f32_e32 v4, v4
	v_cvt_u32_f32_e32 v3, v3
	v_mul_lo_u32 v5, s0, v4
	v_mul_hi_u32 v9, s0, v3
	v_mul_lo_u32 v11, s26, v3
	v_add_nc_u32_e32 v5, v9, v5
	v_mul_lo_u32 v9, s0, v3
	v_add_nc_u32_e32 v5, v5, v11
	v_mul_hi_u32 v11, v3, v9
	v_mul_lo_u32 v14, v3, v5
	v_mul_hi_u32 v15, v3, v5
	v_mul_hi_u32 v16, v4, v9
	v_mul_lo_u32 v9, v4, v9
	v_mul_hi_u32 v17, v4, v5
	v_mul_lo_u32 v5, v4, v5
	v_add_co_u32 v11, vcc_lo, v11, v14
	v_add_co_ci_u32_e32 v14, vcc_lo, 0, v15, vcc_lo
	v_add_co_u32 v9, vcc_lo, v11, v9
	v_add_co_ci_u32_e32 v9, vcc_lo, v14, v16, vcc_lo
	v_add_co_ci_u32_e32 v11, vcc_lo, 0, v17, vcc_lo
	v_add_co_u32 v5, vcc_lo, v9, v5
	v_add_co_ci_u32_e32 v9, vcc_lo, 0, v11, vcc_lo
	v_add_co_u32 v3, vcc_lo, v3, v5
	v_add_co_ci_u32_e32 v4, vcc_lo, v4, v9, vcc_lo
	v_mul_hi_u32 v5, s0, v3
	v_mul_lo_u32 v11, s26, v3
	v_mul_lo_u32 v9, s0, v4
	v_add_nc_u32_e32 v5, v5, v9
	v_mul_lo_u32 v9, s0, v3
	v_add_nc_u32_e32 v5, v5, v11
	v_mul_hi_u32 v11, v3, v9
	v_mul_lo_u32 v14, v3, v5
	v_mul_hi_u32 v15, v3, v5
	v_mul_hi_u32 v16, v4, v9
	v_mul_lo_u32 v9, v4, v9
	v_mul_hi_u32 v17, v4, v5
	v_mul_lo_u32 v5, v4, v5
	v_add_co_u32 v11, vcc_lo, v11, v14
	v_add_co_ci_u32_e32 v14, vcc_lo, 0, v15, vcc_lo
	v_add_co_u32 v9, vcc_lo, v11, v9
	v_add_co_ci_u32_e32 v9, vcc_lo, v14, v16, vcc_lo
	v_add_co_ci_u32_e32 v11, vcc_lo, 0, v17, vcc_lo
	v_add_co_u32 v5, vcc_lo, v9, v5
	v_add_co_ci_u32_e32 v9, vcc_lo, 0, v11, vcc_lo
	v_add_co_u32 v5, vcc_lo, v3, v5
	v_add_co_ci_u32_e32 v9, vcc_lo, v4, v9, vcc_lo
	v_mul_hi_u32 v11, v12, v5
	v_mad_u64_u32 v[14:15], null, v13, v5, 0
	v_mad_u64_u32 v[3:4], null, v12, v9, 0
	;; [unrolled: 1-line block ×3, first 2 shown]
	v_add_co_u32 v3, vcc_lo, v11, v3
	v_add_co_ci_u32_e32 v4, vcc_lo, 0, v4, vcc_lo
	v_add_co_u32 v3, vcc_lo, v3, v14
	v_add_co_ci_u32_e32 v3, vcc_lo, v4, v15, vcc_lo
	v_add_co_ci_u32_e32 v4, vcc_lo, 0, v17, vcc_lo
	v_add_co_u32 v5, vcc_lo, v3, v16
	v_add_co_ci_u32_e32 v9, vcc_lo, 0, v4, vcc_lo
	v_mul_lo_u32 v11, s25, v5
	v_mad_u64_u32 v[3:4], null, s24, v5, 0
	v_mul_lo_u32 v14, s24, v9
	v_sub_co_u32 v3, vcc_lo, v12, v3
	v_add3_u32 v4, v4, v14, v11
	v_sub_nc_u32_e32 v11, v13, v4
	v_subrev_co_ci_u32_e64 v11, s0, s25, v11, vcc_lo
	v_add_co_u32 v14, s0, v5, 2
	v_add_co_ci_u32_e64 v15, s0, 0, v9, s0
	v_sub_co_u32 v16, s0, v3, s24
	v_sub_co_ci_u32_e32 v4, vcc_lo, v13, v4, vcc_lo
	v_subrev_co_ci_u32_e64 v11, s0, 0, v11, s0
	v_cmp_le_u32_e32 vcc_lo, s24, v16
	v_cmp_eq_u32_e64 s0, s25, v4
	v_cndmask_b32_e64 v16, 0, -1, vcc_lo
	v_cmp_le_u32_e32 vcc_lo, s25, v11
	v_cndmask_b32_e64 v17, 0, -1, vcc_lo
	v_cmp_le_u32_e32 vcc_lo, s24, v3
	;; [unrolled: 2-line block ×3, first 2 shown]
	v_cndmask_b32_e64 v18, 0, -1, vcc_lo
	v_cmp_eq_u32_e32 vcc_lo, s25, v11
	v_cndmask_b32_e64 v3, v18, v3, s0
	v_cndmask_b32_e32 v11, v17, v16, vcc_lo
	v_add_co_u32 v16, vcc_lo, v5, 1
	v_add_co_ci_u32_e32 v17, vcc_lo, 0, v9, vcc_lo
	v_cmp_ne_u32_e32 vcc_lo, 0, v11
	v_cndmask_b32_e32 v4, v17, v15, vcc_lo
	v_cndmask_b32_e32 v11, v16, v14, vcc_lo
	v_cmp_ne_u32_e32 vcc_lo, 0, v3
	v_cndmask_b32_e32 v4, v9, v4, vcc_lo
	v_cndmask_b32_e32 v3, v5, v11, vcc_lo
.LBB0_4:                                ;   in Loop: Header=BB0_2 Depth=1
	s_andn2_saveexec_b32 s0, s1
	s_cbranch_execz .LBB0_6
; %bb.5:                                ;   in Loop: Header=BB0_2 Depth=1
	v_cvt_f32_u32_e32 v3, s24
	s_sub_i32 s1, 0, s24
	v_rcp_iflag_f32_e32 v3, v3
	v_mul_f32_e32 v3, 0x4f7ffffe, v3
	v_cvt_u32_f32_e32 v3, v3
	v_mul_lo_u32 v4, s1, v3
	v_mul_hi_u32 v4, v3, v4
	v_add_nc_u32_e32 v3, v3, v4
	v_mul_hi_u32 v3, v12, v3
	v_mul_lo_u32 v4, v3, s24
	v_add_nc_u32_e32 v5, 1, v3
	v_sub_nc_u32_e32 v4, v12, v4
	v_subrev_nc_u32_e32 v9, s24, v4
	v_cmp_le_u32_e32 vcc_lo, s24, v4
	v_cndmask_b32_e32 v4, v4, v9, vcc_lo
	v_cndmask_b32_e32 v3, v3, v5, vcc_lo
	v_cmp_le_u32_e32 vcc_lo, s24, v4
	v_add_nc_u32_e32 v5, 1, v3
	v_mov_b32_e32 v4, v10
	v_cndmask_b32_e32 v3, v3, v5, vcc_lo
.LBB0_6:                                ;   in Loop: Header=BB0_2 Depth=1
	s_or_b32 exec_lo, exec_lo, s0
	v_mul_lo_u32 v5, v4, s24
	v_mul_lo_u32 v9, v3, s25
	s_load_dwordx2 s[0:1], s[6:7], 0x0
	v_mad_u64_u32 v[14:15], null, v3, s24, 0
	s_load_dwordx2 s[24:25], s[2:3], 0x0
	s_add_u32 s22, s22, 1
	s_addc_u32 s23, s23, 0
	s_add_u32 s2, s2, 8
	s_addc_u32 s3, s3, 0
	s_add_u32 s6, s6, 8
	v_add3_u32 v5, v15, v9, v5
	v_sub_co_u32 v9, vcc_lo, v12, v14
	s_addc_u32 s7, s7, 0
	s_add_u32 s20, s20, 8
	v_sub_co_ci_u32_e32 v5, vcc_lo, v13, v5, vcc_lo
	s_addc_u32 s21, s21, 0
	s_waitcnt lgkmcnt(0)
	v_mul_lo_u32 v11, s0, v5
	v_mul_lo_u32 v12, s1, v9
	v_mad_u64_u32 v[6:7], null, s0, v9, v[6:7]
	v_mul_lo_u32 v5, s24, v5
	v_mul_lo_u32 v13, s25, v9
	v_mad_u64_u32 v[1:2], null, s24, v9, v[1:2]
	v_cmp_ge_u64_e64 s0, s[22:23], s[14:15]
	v_add3_u32 v7, v12, v7, v11
	v_add3_u32 v2, v13, v2, v5
	s_and_b32 vcc_lo, exec_lo, s0
	s_cbranch_vccnz .LBB0_8
; %bb.7:                                ;   in Loop: Header=BB0_2 Depth=1
	v_mov_b32_e32 v13, v4
	v_mov_b32_e32 v12, v3
	s_branch .LBB0_2
.LBB0_8:
	s_load_dwordx2 s[0:1], s[4:5], 0x28
	v_mul_hi_u32 v5, 0xaaaaaaab, v8
	v_mul_hi_u32 v10, 0xccccccd, v0
	s_lshl_b64 s[4:5], s[14:15], 3
	s_add_u32 s2, s18, s4
	s_addc_u32 s3, s19, s5
	v_lshrrev_b32_e32 v5, 1, v5
	v_lshl_add_u32 v5, v5, 1, v5
	v_sub_nc_u32_e32 v11, v8, v5
	s_waitcnt lgkmcnt(0)
	v_cmp_gt_u64_e32 vcc_lo, s[0:1], v[3:4]
	v_cmp_le_u64_e64 s0, s[0:1], v[3:4]
                                        ; implicit-def: $vgpr5
                                        ; implicit-def: $vgpr8_vgpr9
	s_and_saveexec_b32 s1, s0
	s_xor_b32 s0, exec_lo, s1
; %bb.9:
	v_mul_u32_u24_e32 v5, 20, v10
	v_mov_b32_e32 v6, 0
                                        ; implicit-def: $vgpr10
	v_sub_nc_u32_e32 v5, v0, v5
	v_mov_b32_e32 v9, v6
                                        ; implicit-def: $vgpr0
	v_mov_b32_e32 v8, v5
                                        ; implicit-def: $vgpr6_vgpr7
; %bb.10:
	s_or_saveexec_b32 s1, s0
	s_load_dwordx2 s[2:3], s[2:3], 0x0
	v_mul_u32_u24_e32 v12, 0xc9, v11
	v_lshlrev_b32_e32 v14, 3, v12
	s_xor_b32 exec_lo, exec_lo, s1
	s_cbranch_execz .LBB0_14
; %bb.11:
	s_add_u32 s4, s16, s4
	s_addc_u32 s5, s17, s5
	v_lshlrev_b64 v[6:7], 3, v[6:7]
	s_load_dwordx2 s[4:5], s[4:5], 0x0
	s_waitcnt lgkmcnt(0)
	v_mul_lo_u32 v5, s5, v3
	v_mul_lo_u32 v11, s4, v4
	v_mad_u64_u32 v[8:9], null, s4, v3, 0
	s_mov_b32 s4, exec_lo
	v_add3_u32 v9, v9, v11, v5
	v_mul_u32_u24_e32 v5, 20, v10
	v_lshlrev_b64 v[8:9], 3, v[8:9]
	v_sub_nc_u32_e32 v5, v0, v5
	v_add_co_u32 v0, s0, s8, v8
	v_add_co_ci_u32_e64 v8, s0, s9, v9, s0
	v_lshlrev_b32_e32 v9, 3, v5
	v_add_co_u32 v10, s0, v0, v6
	v_add_co_ci_u32_e64 v11, s0, v8, v7, s0
	v_add3_u32 v0, 0, v14, v9
	v_add_co_u32 v6, s0, v10, v9
	v_add_co_ci_u32_e64 v7, s0, 0, v11, s0
	s_clause 0x9
	global_load_dwordx2 v[15:16], v[6:7], off
	global_load_dwordx2 v[17:18], v[6:7], off offset:160
	global_load_dwordx2 v[19:20], v[6:7], off offset:320
	;; [unrolled: 1-line block ×9, first 2 shown]
	v_mov_b32_e32 v6, 0
	s_waitcnt vmcnt(8)
	ds_write2_b64 v0, v[15:16], v[17:18] offset1:20
	s_waitcnt vmcnt(6)
	ds_write2_b64 v0, v[19:20], v[21:22] offset0:40 offset1:60
	s_waitcnt vmcnt(4)
	ds_write2_b64 v0, v[23:24], v[25:26] offset0:80 offset1:100
	;; [unrolled: 2-line block ×4, first 2 shown]
	v_mov_b32_e32 v9, v6
	v_mov_b32_e32 v8, v5
	v_cmpx_eq_u32_e32 19, v5
	s_cbranch_execz .LBB0_13
; %bb.12:
	global_load_dwordx2 v[6:7], v[10:11], off offset:1600
	v_mov_b32_e32 v8, 19
	v_mov_b32_e32 v9, 0
	v_mov_b32_e32 v5, 19
	s_waitcnt vmcnt(0)
	ds_write_b64 v0, v[6:7] offset:1448
.LBB0_13:
	s_or_b32 exec_lo, exec_lo, s4
.LBB0_14:
	s_or_b32 exec_lo, exec_lo, s1
	v_lshl_add_u32 v0, v12, 3, 0
	v_lshlrev_b32_e32 v16, 3, v5
	s_waitcnt lgkmcnt(0)
	s_barrier
	buffer_gl0_inv
	v_lshlrev_b64 v[7:8], 3, v[8:9]
	v_add_nc_u32_e32 v13, v0, v16
	v_sub_nc_u32_e32 v15, v0, v16
	s_mov_b32 s1, exec_lo
	ds_read_b32 v6, v13
	ds_read_b32 v10, v15 offset:1600
	s_waitcnt lgkmcnt(0)
	v_add_f32_e32 v11, v10, v6
	v_sub_f32_e32 v12, v6, v10
	v_cmpx_ne_u32_e32 0, v5
	s_xor_b32 s1, exec_lo, s1
	s_cbranch_execz .LBB0_16
; %bb.15:
	v_add_co_u32 v11, s0, s12, v7
	v_add_co_ci_u32_e64 v12, s0, s13, v8, s0
	global_load_dwordx2 v[17:18], v[11:12], off offset:1520
	ds_read_b32 v9, v15 offset:1604
	ds_read_b32 v11, v13 offset:4
	v_add_f32_e32 v12, v10, v6
	v_sub_f32_e32 v6, v6, v10
	s_waitcnt lgkmcnt(0)
	v_add_f32_e32 v19, v9, v11
	v_sub_f32_e32 v11, v11, v9
	s_waitcnt vmcnt(0)
	v_fma_f32 v9, -v6, v18, v12
	v_fma_f32 v10, v19, v18, -v11
	v_fma_f32 v20, v6, v18, v12
	v_fma_f32 v12, v19, v18, v11
	v_fmac_f32_e32 v9, v17, v19
	v_fmac_f32_e32 v10, v6, v17
	v_fma_f32 v11, -v17, v19, v20
	v_fmac_f32_e32 v12, v6, v17
	ds_write_b64 v15, v[9:10] offset:1600
.LBB0_16:
	s_andn2_saveexec_b32 s0, s1
	s_cbranch_execz .LBB0_18
; %bb.17:
	ds_read_b64 v[9:10], v0 offset:800
	s_waitcnt lgkmcnt(0)
	v_add_f32_e32 v9, v9, v9
	v_mul_f32_e32 v10, -2.0, v10
	ds_write_b64 v0, v[9:10] offset:800
.LBB0_18:
	s_or_b32 exec_lo, exec_lo, s0
	v_mov_b32_e32 v6, 0
	s_add_u32 s0, s12, 0x5f0
	s_addc_u32 s1, s13, 0
	v_lshlrev_b64 v[9:10], 3, v[5:6]
	v_mov_b32_e32 v32, v6
	v_add_co_u32 v17, s0, s0, v9
	v_add_co_ci_u32_e64 v18, s0, s1, v10, s0
	v_cmp_gt_u32_e64 s0, 10, v5
	s_clause 0x3
	global_load_dwordx2 v[19:20], v[17:18], off offset:160
	global_load_dwordx2 v[21:22], v[17:18], off offset:320
	global_load_dwordx2 v[23:24], v[17:18], off offset:480
	global_load_dwordx2 v[17:18], v[17:18], off offset:640
	ds_write_b64 v13, v[11:12]
	ds_read_b64 v[11:12], v13 offset:160
	ds_read_b64 v[25:26], v15 offset:1440
	s_waitcnt lgkmcnt(0)
	v_add_f32_e32 v27, v11, v25
	v_add_f32_e32 v28, v26, v12
	v_sub_f32_e32 v29, v11, v25
	v_sub_f32_e32 v11, v12, v26
	s_waitcnt vmcnt(3)
	v_fma_f32 v30, v29, v20, v27
	v_fma_f32 v12, v28, v20, v11
	v_fma_f32 v25, -v29, v20, v27
	v_fma_f32 v26, v28, v20, -v11
	v_fma_f32 v11, -v19, v28, v30
	v_fmac_f32_e32 v12, v29, v19
	v_fmac_f32_e32 v25, v19, v28
	v_fmac_f32_e32 v26, v29, v19
	ds_write_b64 v13, v[11:12] offset:160
	ds_write_b64 v15, v[25:26] offset:1440
	ds_read_b64 v[11:12], v13 offset:320
	ds_read_b64 v[19:20], v15 offset:1280
	s_waitcnt lgkmcnt(0)
	v_add_f32_e32 v25, v11, v19
	v_add_f32_e32 v26, v20, v12
	v_sub_f32_e32 v27, v11, v19
	v_sub_f32_e32 v11, v12, v20
	s_waitcnt vmcnt(2)
	v_fma_f32 v28, v27, v22, v25
	v_fma_f32 v12, v26, v22, v11
	v_fma_f32 v19, -v27, v22, v25
	v_fma_f32 v20, v26, v22, -v11
	v_fma_f32 v11, -v21, v26, v28
	v_fmac_f32_e32 v12, v27, v21
	v_fmac_f32_e32 v19, v21, v26
	v_fmac_f32_e32 v20, v27, v21
	ds_write_b64 v13, v[11:12] offset:320
	ds_write_b64 v15, v[19:20] offset:1280
	;; [unrolled: 18-line block ×3, first 2 shown]
	ds_read_b64 v[11:12], v13 offset:640
	ds_read_b64 v[19:20], v15 offset:960
	s_waitcnt lgkmcnt(0)
	v_add_f32_e32 v21, v11, v19
	v_add_f32_e32 v22, v20, v12
	v_sub_f32_e32 v23, v11, v19
	v_sub_f32_e32 v12, v12, v20
	v_add3_u32 v11, 0, v16, v14
	s_waitcnt vmcnt(0)
	v_fma_f32 v16, v23, v18, v21
	v_fma_f32 v19, v22, v18, v12
	v_fma_f32 v20, -v23, v18, v21
	v_fma_f32 v21, v22, v18, -v12
	v_add_nc_u32_e32 v12, -10, v5
	v_fma_f32 v18, -v17, v22, v16
	v_fmac_f32_e32 v19, v23, v17
	v_fmac_f32_e32 v20, v17, v22
	;; [unrolled: 1-line block ×3, first 2 shown]
	ds_write_b64 v13, v[18:19] offset:640
	ds_write_b64 v15, v[20:21] offset:960
	s_waitcnt lgkmcnt(0)
	s_barrier
	buffer_gl0_inv
	s_barrier
	buffer_gl0_inv
	ds_read2_b64 v[15:18], v11 offset0:20 offset1:40
	ds_read2_b64 v[19:22], v11 offset0:60 offset1:80
	ds_read_b64 v[33:34], v13
	ds_read2_b64 v[23:26], v11 offset0:100 offset1:120
	ds_read2_b64 v[27:30], v11 offset0:140 offset1:160
	ds_read_b64 v[35:36], v11 offset:1440
	v_cndmask_b32_e64 v12, v12, v5, s0
	v_mad_u32_u24 v37, 0x48, v5, v11
	s_waitcnt lgkmcnt(0)
	s_barrier
	buffer_gl0_inv
	v_mul_i32_i24_e32 v31, 9, v12
	v_lshlrev_b64 v[31:32], 3, v[31:32]
	v_add_f32_e32 v57, v16, v20
	v_add_f32_e32 v38, v33, v17
	;; [unrolled: 1-line block ×9, first 2 shown]
	v_sub_f32_e32 v42, v17, v21
	v_sub_f32_e32 v44, v21, v17
	;; [unrolled: 1-line block ×4, first 2 shown]
	v_fma_f32 v52, -0.5, v52, v15
	v_add_f32_e32 v21, v38, v21
	v_sub_f32_e32 v40, v18, v30
	v_sub_f32_e32 v41, v22, v26
	v_add_f32_e32 v43, v17, v29
	v_add_f32_e32 v46, v22, v26
	v_sub_f32_e32 v48, v18, v22
	v_add_f32_e32 v49, v18, v30
	v_sub_f32_e32 v18, v22, v18
	v_sub_f32_e32 v59, v20, v24
	;; [unrolled: 1-line block ×4, first 2 shown]
	v_fma_f32 v53, -0.5, v53, v15
	v_fma_f32 v55, -0.5, v55, v16
	v_sub_f32_e32 v15, v25, v29
	v_add_f32_e32 v22, v45, v22
	v_sub_f32_e32 v63, v24, v28
	v_sub_f32_e32 v64, v23, v27
	v_add_f32_e32 v24, v57, v24
	v_sub_f32_e32 v56, v19, v23
	v_sub_f32_e32 v58, v23, v19
	;; [unrolled: 1-line block ×3, first 2 shown]
	v_fma_f32 v54, -0.5, v54, v16
	v_add_f32_e32 v23, v50, v23
	v_sub_f32_e32 v62, v35, v27
	v_add_f32_e32 v21, v21, v25
	v_fmamk_f32 v25, v51, 0x3f737871, v52
	v_sub_f32_e32 v16, v30, v26
	v_sub_f32_e32 v61, v26, v30
	;; [unrolled: 1-line block ×4, first 2 shown]
	v_add_f32_e32 v42, v42, v60
	v_sub_f32_e32 v60, v28, v36
	v_add_f32_e32 v15, v44, v15
	v_fma_f32 v44, -0.5, v46, v34
	v_fmac_f32_e32 v34, -0.5, v49
	v_fma_f32 v39, -0.5, v39, v33
	v_fma_f32 v33, -0.5, v43, v33
	v_add_f32_e32 v22, v22, v26
	v_add_f32_e32 v24, v24, v28
	v_fmamk_f32 v26, v63, 0xbf737871, v53
	v_fmac_f32_e32 v53, 0x3f737871, v63
	v_fmamk_f32 v28, v64, 0x3f737871, v55
	v_fmac_f32_e32 v55, 0xbf737871, v64
	v_sub_f32_e32 v17, v17, v29
	v_add_f32_e32 v23, v23, v27
	v_fmac_f32_e32 v52, 0xbf737871, v51
	v_fmamk_f32 v27, v19, 0xbf737871, v54
	v_fmac_f32_e32 v54, 0x3f737871, v19
	v_add_f32_e32 v46, v56, v62
	v_fmac_f32_e32 v25, 0x3f167918, v63
	v_add_f32_e32 v16, v48, v16
	v_add_f32_e32 v38, v58, v38
	;; [unrolled: 1-line block ×3, first 2 shown]
	v_fmamk_f32 v48, v41, 0xbf737871, v33
	v_fmac_f32_e32 v33, 0x3f737871, v41
	v_fmamk_f32 v50, v47, 0x3f737871, v34
	v_fmac_f32_e32 v34, 0xbf737871, v47
	v_fmac_f32_e32 v26, 0x3f167918, v51
	;; [unrolled: 1-line block ×5, first 2 shown]
	v_add_f32_e32 v45, v59, v45
	v_fmamk_f32 v49, v17, 0xbf737871, v44
	v_fmac_f32_e32 v44, 0x3f737871, v17
	v_fmac_f32_e32 v52, 0xbf167918, v63
	v_fmac_f32_e32 v54, 0x3f167918, v64
	v_fmamk_f32 v43, v40, 0x3f737871, v39
	v_fmac_f32_e32 v27, 0xbf167918, v64
	v_fmac_f32_e32 v25, 0x3e9e377a, v46
	v_add_f32_e32 v21, v21, v29
	v_fmac_f32_e32 v48, 0x3f167918, v40
	v_fmac_f32_e32 v33, 0xbf167918, v40
	;; [unrolled: 1-line block ×4, first 2 shown]
	v_add_f32_e32 v17, v23, v35
	v_fmac_f32_e32 v26, 0x3e9e377a, v38
	v_fmac_f32_e32 v53, 0x3e9e377a, v38
	;; [unrolled: 1-line block ×4, first 2 shown]
	v_add_f32_e32 v18, v18, v61
	v_fmac_f32_e32 v39, 0xbf737871, v40
	v_add_f32_e32 v22, v22, v30
	v_fmac_f32_e32 v49, 0xbf167918, v47
	v_fmac_f32_e32 v44, 0x3f167918, v47
	v_add_f32_e32 v23, v24, v36
	v_fmac_f32_e32 v52, 0x3e9e377a, v46
	v_fmac_f32_e32 v54, 0x3e9e377a, v45
	;; [unrolled: 1-line block ×4, first 2 shown]
	v_mul_f32_e32 v29, 0x3f4f1bbd, v25
	v_mul_f32_e32 v36, 0xbf167918, v25
	v_fmac_f32_e32 v48, 0x3e9e377a, v15
	v_fmac_f32_e32 v33, 0x3e9e377a, v15
	v_add_f32_e32 v15, v21, v17
	v_sub_f32_e32 v17, v21, v17
	v_mul_f32_e32 v30, 0x3f737871, v28
	v_mul_f32_e32 v19, 0x3e9e377a, v53
	;; [unrolled: 1-line block ×4, first 2 shown]
	v_fmac_f32_e32 v39, 0xbf167918, v41
	v_fmac_f32_e32 v49, 0x3e9e377a, v16
	;; [unrolled: 1-line block ×5, first 2 shown]
	v_add_f32_e32 v16, v22, v23
	v_sub_f32_e32 v18, v22, v23
	v_mul_f32_e32 v20, 0x3f4f1bbd, v52
	v_mul_f32_e32 v22, 0x3f4f1bbd, v54
	v_fmac_f32_e32 v43, 0x3e9e377a, v42
	v_fmac_f32_e32 v29, 0x3f167918, v27
	;; [unrolled: 1-line block ×4, first 2 shown]
	v_fma_f32 v35, 0x3f737871, v55, -v19
	v_fmac_f32_e32 v38, 0x3e9e377a, v28
	v_fma_f32 v41, 0xbf737871, v53, -v21
	v_fmac_f32_e32 v39, 0x3e9e377a, v42
	v_fma_f32 v40, 0x3f167918, v54, -v20
	v_fma_f32 v42, 0xbf167918, v52, -v22
	v_add_co_u32 v31, s0, s12, v31
	v_add_co_ci_u32_e64 v32, s0, s13, v32, s0
	v_add_f32_e32 v19, v43, v29
	v_add_f32_e32 v20, v49, v36
	v_add_f32_e32 v21, v48, v30
	v_add_f32_e32 v23, v33, v35
	v_add_f32_e32 v22, v50, v38
	v_add_f32_e32 v24, v34, v41
	v_add_f32_e32 v25, v39, v40
	v_add_f32_e32 v26, v44, v42
	v_sub_f32_e32 v27, v43, v29
	v_sub_f32_e32 v29, v48, v30
	v_sub_f32_e32 v28, v49, v36
	v_sub_f32_e32 v30, v50, v38
	v_sub_f32_e32 v33, v33, v35
	v_sub_f32_e32 v35, v39, v40
	v_sub_f32_e32 v34, v34, v41
	v_sub_f32_e32 v36, v44, v42
	ds_write2_b64 v37, v[15:16], v[19:20] offset1:1
	ds_write2_b64 v37, v[21:22], v[23:24] offset0:2 offset1:3
	ds_write2_b64 v37, v[25:26], v[17:18] offset0:4 offset1:5
	ds_write2_b64 v37, v[27:28], v[29:30] offset0:6 offset1:7
	ds_write2_b64 v37, v[33:34], v[35:36] offset0:8 offset1:9
	s_waitcnt lgkmcnt(0)
	s_barrier
	buffer_gl0_inv
	s_clause 0x4
	global_load_dwordx4 v[15:18], v[31:32], off
	global_load_dwordx4 v[19:22], v[31:32], off offset:16
	global_load_dwordx4 v[23:26], v[31:32], off offset:32
	global_load_dwordx4 v[27:30], v[31:32], off offset:48
	global_load_dwordx2 v[43:44], v[31:32], off offset:64
	v_cmp_lt_u32_e64 s0, 9, v5
	v_mad_i32_i24 v53, 0xffffffb8, v5, v37
	ds_read2_b64 v[31:34], v53 offset0:20 offset1:40
	ds_read2_b64 v[35:38], v53 offset0:60 offset1:80
	v_cndmask_b32_e64 v39, 0, 0x320, s0
	v_add_co_u32 v45, s0, s12, v7
	v_add_co_ci_u32_e64 v46, s0, s13, v8, s0
	v_add_nc_u32_e32 v7, 0, v39
	v_lshlrev_b32_e32 v8, 3, v12
	v_add_co_u32 v47, s0, s12, v9
	ds_read2_b64 v[39:42], v11 offset0:100 offset1:120
	v_add_co_ci_u32_e64 v48, s0, s13, v10, s0
	v_add3_u32 v12, v7, v8, v14
	ds_read2_b64 v[7:10], v11 offset0:140 offset1:160
	ds_read_b64 v[49:50], v13
	ds_read_b64 v[51:52], v11 offset:1440
	s_waitcnt vmcnt(0) lgkmcnt(0)
	s_barrier
	buffer_gl0_inv
	v_mul_f32_e32 v14, v16, v32
	v_mul_f32_e32 v16, v16, v31
	v_mul_f32_e32 v54, v18, v34
	v_mul_f32_e32 v18, v18, v33
	v_mul_f32_e32 v55, v20, v36
	v_mul_f32_e32 v20, v20, v35
	v_mul_f32_e32 v56, v22, v38
	v_mul_f32_e32 v22, v22, v37
	v_mul_f32_e32 v57, v24, v40
	v_mul_f32_e32 v24, v24, v39
	v_mul_f32_e32 v58, v42, v26
	v_mul_f32_e32 v26, v41, v26
	v_fma_f32 v14, v15, v31, -v14
	v_fmac_f32_e32 v16, v15, v32
	v_fma_f32 v15, v17, v33, -v54
	v_fmac_f32_e32 v18, v17, v34
	v_mul_f32_e32 v17, v8, v28
	v_mul_f32_e32 v28, v7, v28
	;; [unrolled: 1-line block ×6, first 2 shown]
	v_fma_f32 v34, v19, v35, -v55
	v_fmac_f32_e32 v20, v19, v36
	v_fma_f32 v19, v21, v37, -v56
	v_fmac_f32_e32 v22, v21, v38
	;; [unrolled: 2-line block ×7, first 2 shown]
	v_add_f32_e32 v10, v49, v15
	v_add_f32_e32 v17, v19, v23
	v_sub_f32_e32 v29, v15, v19
	v_sub_f32_e32 v31, v8, v23
	;; [unrolled: 1-line block ×4, first 2 shown]
	v_add_f32_e32 v37, v50, v18
	v_add_f32_e32 v38, v22, v26
	v_sub_f32_e32 v40, v18, v22
	v_sub_f32_e32 v41, v30, v26
	v_add_f32_e32 v42, v18, v30
	v_add_f32_e32 v44, v14, v34
	;; [unrolled: 1-line block ×4, first 2 shown]
	v_sub_f32_e32 v39, v19, v23
	v_add_f32_e32 v57, v34, v9
	v_add_f32_e32 v60, v16, v20
	;; [unrolled: 1-line block ×4, first 2 shown]
	v_sub_f32_e32 v25, v18, v30
	v_sub_f32_e32 v27, v22, v26
	;; [unrolled: 1-line block ×10, first 2 shown]
	v_add_f32_e32 v29, v29, v31
	v_sub_f32_e32 v31, v28, v33
	v_add_f32_e32 v35, v35, v36
	v_add_f32_e32 v22, v37, v22
	;; [unrolled: 1-line block ×3, first 2 shown]
	v_fma_f32 v37, -0.5, v38, v50
	v_fmac_f32_e32 v50, -0.5, v42
	v_add_f32_e32 v21, v44, v21
	v_fma_f32 v40, -0.5, v17, v49
	v_fma_f32 v17, -0.5, v51, v14
	;; [unrolled: 1-line block ×3, first 2 shown]
	v_sub_f32_e32 v54, v24, v28
	v_fmac_f32_e32 v14, -0.5, v57
	v_add_f32_e32 v24, v60, v24
	v_fmac_f32_e32 v16, -0.5, v19
	v_sub_f32_e32 v43, v26, v30
	v_sub_f32_e32 v56, v9, v7
	v_sub_f32_e32 v59, v7, v9
	v_sub_f32_e32 v64, v33, v28
	v_add_f32_e32 v19, v20, v31
	v_add_f32_e32 v20, v22, v26
	;; [unrolled: 1-line block ×3, first 2 shown]
	v_fmamk_f32 v21, v52, 0x3f737871, v17
	v_fmamk_f32 v26, v34, 0xbf737871, v42
	v_add_f32_e32 v32, v15, v8
	v_fmamk_f32 v22, v54, 0xbf737871, v14
	v_fmac_f32_e32 v14, 0x3f737871, v54
	v_add_f32_e32 v24, v24, v28
	v_fmamk_f32 v28, v62, 0x3f737871, v16
	v_fmac_f32_e32 v16, 0xbf737871, v62
	v_fmac_f32_e32 v17, 0xbf737871, v52
	;; [unrolled: 1-line block ×3, first 2 shown]
	v_sub_f32_e32 v15, v15, v8
	v_add_f32_e32 v18, v18, v43
	v_add_f32_e32 v38, v55, v56
	;; [unrolled: 1-line block ×3, first 2 shown]
	v_fmac_f32_e32 v21, 0x3f167918, v54
	v_fmac_f32_e32 v26, 0xbf167918, v62
	v_fma_f32 v32, -0.5, v32, v49
	v_add_f32_e32 v41, v58, v59
	v_add_f32_e32 v10, v10, v23
	v_fmamk_f32 v23, v25, 0x3f737871, v40
	v_fmac_f32_e32 v40, 0xbf737871, v25
	v_fmamk_f32 v49, v39, 0x3f737871, v50
	v_fmac_f32_e32 v50, 0xbf737871, v39
	v_fmac_f32_e32 v22, 0x3f167918, v52
	;; [unrolled: 1-line block ×7, first 2 shown]
	v_fmamk_f32 v44, v15, 0xbf737871, v37
	v_fmac_f32_e32 v21, 0x3e9e377a, v38
	v_fmac_f32_e32 v26, 0x3e9e377a, v43
	v_fmamk_f32 v31, v27, 0xbf737871, v32
	v_fmac_f32_e32 v32, 0x3f737871, v27
	v_fmac_f32_e32 v37, 0x3f737871, v15
	v_add_f32_e32 v10, v10, v8
	v_fmac_f32_e32 v23, 0x3f167918, v27
	v_fmac_f32_e32 v40, 0xbf167918, v27
	v_add_f32_e32 v20, v20, v30
	v_fmac_f32_e32 v49, 0xbf167918, v15
	v_fmac_f32_e32 v50, 0x3f167918, v15
	v_add_f32_e32 v9, v7, v9
	v_add_f32_e32 v15, v24, v33
	v_fmac_f32_e32 v22, 0x3e9e377a, v41
	v_fmac_f32_e32 v14, 0x3e9e377a, v41
	;; [unrolled: 1-line block ×7, first 2 shown]
	v_mul_f32_e32 v24, 0x3f167918, v26
	v_mul_f32_e32 v27, 0xbf167918, v21
	v_fmac_f32_e32 v31, 0x3f167918, v25
	v_fmac_f32_e32 v32, 0xbf167918, v25
	;; [unrolled: 1-line block ×4, first 2 shown]
	v_add_f32_e32 v7, v10, v9
	v_add_f32_e32 v8, v20, v15
	v_sub_f32_e32 v9, v10, v9
	v_sub_f32_e32 v10, v20, v15
	v_mul_f32_e32 v25, 0x3f737871, v28
	v_mul_f32_e32 v15, 0x3e9e377a, v14
	v_mul_f32_e32 v29, 0xbf737871, v22
	v_mul_f32_e32 v19, 0x3e9e377a, v16
	v_fmac_f32_e32 v37, 0x3f167918, v39
	v_fmac_f32_e32 v49, 0x3e9e377a, v18
	;; [unrolled: 1-line block ×3, first 2 shown]
	v_mul_f32_e32 v18, 0x3f4f1bbd, v17
	v_mul_f32_e32 v20, 0x3f4f1bbd, v42
	v_fmac_f32_e32 v44, 0x3e9e377a, v36
	v_fmac_f32_e32 v24, 0x3f4f1bbd, v21
	;; [unrolled: 1-line block ×6, first 2 shown]
	v_fma_f32 v30, 0x3f737871, v16, -v15
	v_fmac_f32_e32 v29, 0x3e9e377a, v28
	v_fma_f32 v34, 0xbf737871, v14, -v19
	v_fmac_f32_e32 v37, 0x3e9e377a, v36
	v_fma_f32 v33, 0x3f167918, v42, -v18
	v_fma_f32 v35, 0xbf167918, v17, -v20
	v_add_f32_e32 v14, v23, v24
	v_add_f32_e32 v15, v44, v27
	;; [unrolled: 1-line block ×8, first 2 shown]
	v_sub_f32_e32 v22, v23, v24
	v_sub_f32_e32 v24, v31, v25
	v_sub_f32_e32 v23, v44, v27
	v_sub_f32_e32 v25, v49, v29
	v_sub_f32_e32 v26, v32, v30
	v_sub_f32_e32 v28, v40, v33
	v_sub_f32_e32 v27, v50, v34
	v_sub_f32_e32 v29, v37, v35
	ds_write2_b64 v12, v[7:8], v[14:15] offset1:10
	ds_write2_b64 v12, v[16:17], v[18:19] offset0:20 offset1:30
	ds_write2_b64 v12, v[20:21], v[9:10] offset0:40 offset1:50
	;; [unrolled: 1-line block ×4, first 2 shown]
	s_waitcnt lgkmcnt(0)
	s_barrier
	buffer_gl0_inv
	s_clause 0x4
	global_load_dwordx2 v[26:27], v[45:46], off offset:720
	global_load_dwordx2 v[28:29], v[47:48], off offset:880
	;; [unrolled: 1-line block ×5, first 2 shown]
	ds_read2_b64 v[7:10], v11 offset0:100 offset1:120
	ds_read2_b64 v[14:17], v11 offset0:140 offset1:160
	ds_read_b64 v[36:37], v11 offset:1440
	ds_read_b64 v[12:13], v13
	ds_read2_b64 v[18:21], v53 offset0:20 offset1:40
	ds_read2_b64 v[22:25], v53 offset0:60 offset1:80
	v_add_nc_u32_e32 v38, 0x400, v53
	s_waitcnt vmcnt(0) lgkmcnt(0)
	s_barrier
	buffer_gl0_inv
	v_mul_f32_e32 v39, v27, v8
	v_mul_f32_e32 v27, v27, v7
	;; [unrolled: 1-line block ×10, first 2 shown]
	v_fma_f32 v7, v26, v7, -v39
	v_fmac_f32_e32 v27, v26, v8
	v_fma_f32 v9, v28, v9, -v40
	v_fmac_f32_e32 v29, v28, v10
	;; [unrolled: 2-line block ×5, first 2 shown]
	v_sub_f32_e32 v7, v12, v7
	v_sub_f32_e32 v8, v13, v27
	;; [unrolled: 1-line block ×10, first 2 shown]
	v_fma_f32 v9, v12, 2.0, -v7
	v_fma_f32 v10, v13, 2.0, -v8
	;; [unrolled: 1-line block ×10, first 2 shown]
	ds_write2_b64 v11, v[9:10], v[7:8] offset1:100
	ds_write2_b32 v53, v26, v27 offset0:240 offset1:241
	ds_write2_b64 v53, v[12:13], v[14:15] offset0:20 offset1:40
	ds_write2_b32 v38, v28, v29 offset0:24 offset1:25
	ds_write2_b32 v38, v30, v31 offset0:64 offset1:65
	ds_write2_b64 v53, v[16:17], v[18:19] offset0:60 offset1:80
	ds_write2_b32 v38, v32, v33 offset0:104 offset1:105
	s_waitcnt lgkmcnt(0)
	s_barrier
	buffer_gl0_inv
	s_and_saveexec_b32 s0, vcc_lo
	s_cbranch_execz .LBB0_20
; %bb.19:
	v_mul_lo_u32 v9, s3, v3
	v_mul_lo_u32 v10, s2, v4
	v_mad_u64_u32 v[3:4], null, s2, v3, 0
	v_lshl_add_u32 v23, v5, 3, v0
	v_lshlrev_b64 v[7:8], 3, v[1:2]
	v_lshlrev_b64 v[11:12], 3, v[5:6]
	v_add_nc_u32_e32 v13, 40, v5
	v_mov_b32_e32 v14, v6
	v_add_nc_u32_e32 v17, 60, v5
	v_add3_u32 v4, v4, v10, v9
	v_add_nc_u32_e32 v9, 20, v5
	v_mov_b32_e32 v10, v6
	v_mov_b32_e32 v18, v6
	;; [unrolled: 1-line block ×3, first 2 shown]
	v_lshlrev_b64 v[15:16], 3, v[3:4]
	ds_read2_b64 v[0:3], v23 offset1:20
	v_add_nc_u32_e32 v21, 0x64, v5
	v_lshlrev_b64 v[17:18], 3, v[17:18]
	v_mov_b32_e32 v22, v6
	v_add_co_u32 v4, vcc_lo, s10, v15
	v_add_co_ci_u32_e32 v19, vcc_lo, s11, v16, vcc_lo
	v_lshlrev_b64 v[15:16], 3, v[9:10]
	v_add_co_u32 v24, vcc_lo, v4, v7
	v_add_co_ci_u32_e32 v25, vcc_lo, v19, v8, vcc_lo
	ds_read2_b64 v[7:10], v23 offset0:40 offset1:60
	v_add_co_u32 v11, vcc_lo, v24, v11
	v_add_co_ci_u32_e32 v12, vcc_lo, v25, v12, vcc_lo
	v_add_nc_u32_e32 v19, 0x50, v5
	v_add_co_u32 v15, vcc_lo, v24, v15
	s_waitcnt lgkmcnt(1)
	global_store_dwordx2 v[11:12], v[0:1], off
	v_lshlrev_b64 v[0:1], 3, v[13:14]
	ds_read2_b64 v[11:14], v23 offset0:80 offset1:100
	v_add_co_ci_u32_e32 v16, vcc_lo, v25, v16, vcc_lo
	v_lshlrev_b64 v[19:20], 3, v[19:20]
	v_add_co_u32 v0, vcc_lo, v24, v0
	v_add_co_ci_u32_e32 v1, vcc_lo, v25, v1, vcc_lo
	v_add_co_u32 v17, vcc_lo, v24, v17
	v_add_co_ci_u32_e32 v18, vcc_lo, v25, v18, vcc_lo
	v_add_co_u32 v19, vcc_lo, v24, v19
	v_add_co_ci_u32_e32 v20, vcc_lo, v25, v20, vcc_lo
	global_store_dwordx2 v[15:16], v[2:3], off
	s_waitcnt lgkmcnt(1)
	global_store_dwordx2 v[0:1], v[7:8], off
	global_store_dwordx2 v[17:18], v[9:10], off
	s_waitcnt lgkmcnt(0)
	global_store_dwordx2 v[19:20], v[11:12], off
	v_lshlrev_b64 v[0:1], 3, v[21:22]
	v_add_nc_u32_e32 v7, 0x78, v5
	v_mov_b32_e32 v8, v6
	v_add_nc_u32_e32 v9, 0x8c, v5
	v_mov_b32_e32 v10, v6
	v_add_nc_u32_e32 v19, 0xa0, v5
	v_add_co_u32 v11, vcc_lo, v24, v0
	v_add_co_ci_u32_e32 v12, vcc_lo, v25, v1, vcc_lo
	ds_read2_b64 v[0:3], v23 offset0:120 offset1:140
	v_lshlrev_b64 v[15:16], 3, v[7:8]
	v_lshlrev_b64 v[17:18], 3, v[9:10]
	v_mov_b32_e32 v20, v6
	ds_read2_b64 v[7:10], v23 offset0:160 offset1:180
	v_add_nc_u32_e32 v5, 0xb4, v5
	v_add_co_u32 v15, vcc_lo, v24, v15
	v_lshlrev_b64 v[19:20], 3, v[19:20]
	v_add_co_ci_u32_e32 v16, vcc_lo, v25, v16, vcc_lo
	v_add_co_u32 v17, vcc_lo, v24, v17
	v_lshlrev_b64 v[4:5], 3, v[5:6]
	v_add_co_ci_u32_e32 v18, vcc_lo, v25, v18, vcc_lo
	v_add_co_u32 v19, vcc_lo, v24, v19
	v_add_co_ci_u32_e32 v20, vcc_lo, v25, v20, vcc_lo
	v_add_co_u32 v4, vcc_lo, v24, v4
	v_add_co_ci_u32_e32 v5, vcc_lo, v25, v5, vcc_lo
	global_store_dwordx2 v[11:12], v[13:14], off
	s_waitcnt lgkmcnt(1)
	global_store_dwordx2 v[15:16], v[0:1], off
	global_store_dwordx2 v[17:18], v[2:3], off
	s_waitcnt lgkmcnt(0)
	global_store_dwordx2 v[19:20], v[7:8], off
	global_store_dwordx2 v[4:5], v[9:10], off
.LBB0_20:
	s_endpgm
	.section	.rodata,"a",@progbits
	.p2align	6, 0x0
	.amdhsa_kernel fft_rtc_fwd_len200_factors_10_10_2_wgs_60_tpt_20_halfLds_sp_op_CI_CI_unitstride_sbrr_C2R_dirReg
		.amdhsa_group_segment_fixed_size 0
		.amdhsa_private_segment_fixed_size 0
		.amdhsa_kernarg_size 104
		.amdhsa_user_sgpr_count 6
		.amdhsa_user_sgpr_private_segment_buffer 1
		.amdhsa_user_sgpr_dispatch_ptr 0
		.amdhsa_user_sgpr_queue_ptr 0
		.amdhsa_user_sgpr_kernarg_segment_ptr 1
		.amdhsa_user_sgpr_dispatch_id 0
		.amdhsa_user_sgpr_flat_scratch_init 0
		.amdhsa_user_sgpr_private_segment_size 0
		.amdhsa_wavefront_size32 1
		.amdhsa_uses_dynamic_stack 0
		.amdhsa_system_sgpr_private_segment_wavefront_offset 0
		.amdhsa_system_sgpr_workgroup_id_x 1
		.amdhsa_system_sgpr_workgroup_id_y 0
		.amdhsa_system_sgpr_workgroup_id_z 0
		.amdhsa_system_sgpr_workgroup_info 0
		.amdhsa_system_vgpr_workitem_id 0
		.amdhsa_next_free_vgpr 65
		.amdhsa_next_free_sgpr 27
		.amdhsa_reserve_vcc 1
		.amdhsa_reserve_flat_scratch 0
		.amdhsa_float_round_mode_32 0
		.amdhsa_float_round_mode_16_64 0
		.amdhsa_float_denorm_mode_32 3
		.amdhsa_float_denorm_mode_16_64 3
		.amdhsa_dx10_clamp 1
		.amdhsa_ieee_mode 1
		.amdhsa_fp16_overflow 0
		.amdhsa_workgroup_processor_mode 1
		.amdhsa_memory_ordered 1
		.amdhsa_forward_progress 0
		.amdhsa_shared_vgpr_count 0
		.amdhsa_exception_fp_ieee_invalid_op 0
		.amdhsa_exception_fp_denorm_src 0
		.amdhsa_exception_fp_ieee_div_zero 0
		.amdhsa_exception_fp_ieee_overflow 0
		.amdhsa_exception_fp_ieee_underflow 0
		.amdhsa_exception_fp_ieee_inexact 0
		.amdhsa_exception_int_div_zero 0
	.end_amdhsa_kernel
	.text
.Lfunc_end0:
	.size	fft_rtc_fwd_len200_factors_10_10_2_wgs_60_tpt_20_halfLds_sp_op_CI_CI_unitstride_sbrr_C2R_dirReg, .Lfunc_end0-fft_rtc_fwd_len200_factors_10_10_2_wgs_60_tpt_20_halfLds_sp_op_CI_CI_unitstride_sbrr_C2R_dirReg
                                        ; -- End function
	.section	.AMDGPU.csdata,"",@progbits
; Kernel info:
; codeLenInByte = 5724
; NumSgprs: 29
; NumVgprs: 65
; ScratchSize: 0
; MemoryBound: 0
; FloatMode: 240
; IeeeMode: 1
; LDSByteSize: 0 bytes/workgroup (compile time only)
; SGPRBlocks: 3
; VGPRBlocks: 8
; NumSGPRsForWavesPerEU: 29
; NumVGPRsForWavesPerEU: 65
; Occupancy: 12
; WaveLimiterHint : 1
; COMPUTE_PGM_RSRC2:SCRATCH_EN: 0
; COMPUTE_PGM_RSRC2:USER_SGPR: 6
; COMPUTE_PGM_RSRC2:TRAP_HANDLER: 0
; COMPUTE_PGM_RSRC2:TGID_X_EN: 1
; COMPUTE_PGM_RSRC2:TGID_Y_EN: 0
; COMPUTE_PGM_RSRC2:TGID_Z_EN: 0
; COMPUTE_PGM_RSRC2:TIDIG_COMP_CNT: 0
	.text
	.p2alignl 6, 3214868480
	.fill 48, 4, 3214868480
	.type	__hip_cuid_81f372c1c091d5c6,@object ; @__hip_cuid_81f372c1c091d5c6
	.section	.bss,"aw",@nobits
	.globl	__hip_cuid_81f372c1c091d5c6
__hip_cuid_81f372c1c091d5c6:
	.byte	0                               ; 0x0
	.size	__hip_cuid_81f372c1c091d5c6, 1

	.ident	"AMD clang version 19.0.0git (https://github.com/RadeonOpenCompute/llvm-project roc-6.4.0 25133 c7fe45cf4b819c5991fe208aaa96edf142730f1d)"
	.section	".note.GNU-stack","",@progbits
	.addrsig
	.addrsig_sym __hip_cuid_81f372c1c091d5c6
	.amdgpu_metadata
---
amdhsa.kernels:
  - .args:
      - .actual_access:  read_only
        .address_space:  global
        .offset:         0
        .size:           8
        .value_kind:     global_buffer
      - .offset:         8
        .size:           8
        .value_kind:     by_value
      - .actual_access:  read_only
        .address_space:  global
        .offset:         16
        .size:           8
        .value_kind:     global_buffer
      - .actual_access:  read_only
        .address_space:  global
        .offset:         24
        .size:           8
        .value_kind:     global_buffer
      - .actual_access:  read_only
        .address_space:  global
        .offset:         32
        .size:           8
        .value_kind:     global_buffer
      - .offset:         40
        .size:           8
        .value_kind:     by_value
      - .actual_access:  read_only
        .address_space:  global
        .offset:         48
        .size:           8
        .value_kind:     global_buffer
      - .actual_access:  read_only
        .address_space:  global
        .offset:         56
        .size:           8
        .value_kind:     global_buffer
      - .offset:         64
        .size:           4
        .value_kind:     by_value
      - .actual_access:  read_only
        .address_space:  global
        .offset:         72
        .size:           8
        .value_kind:     global_buffer
      - .actual_access:  read_only
        .address_space:  global
        .offset:         80
        .size:           8
        .value_kind:     global_buffer
      - .actual_access:  read_only
        .address_space:  global
        .offset:         88
        .size:           8
        .value_kind:     global_buffer
      - .actual_access:  write_only
        .address_space:  global
        .offset:         96
        .size:           8
        .value_kind:     global_buffer
    .group_segment_fixed_size: 0
    .kernarg_segment_align: 8
    .kernarg_segment_size: 104
    .language:       OpenCL C
    .language_version:
      - 2
      - 0
    .max_flat_workgroup_size: 60
    .name:           fft_rtc_fwd_len200_factors_10_10_2_wgs_60_tpt_20_halfLds_sp_op_CI_CI_unitstride_sbrr_C2R_dirReg
    .private_segment_fixed_size: 0
    .sgpr_count:     29
    .sgpr_spill_count: 0
    .symbol:         fft_rtc_fwd_len200_factors_10_10_2_wgs_60_tpt_20_halfLds_sp_op_CI_CI_unitstride_sbrr_C2R_dirReg.kd
    .uniform_work_group_size: 1
    .uses_dynamic_stack: false
    .vgpr_count:     65
    .vgpr_spill_count: 0
    .wavefront_size: 32
    .workgroup_processor_mode: 1
amdhsa.target:   amdgcn-amd-amdhsa--gfx1030
amdhsa.version:
  - 1
  - 2
...

	.end_amdgpu_metadata
